;; amdgpu-corpus repo=ROCm/rocFFT kind=compiled arch=gfx906 opt=O3
	.text
	.amdgcn_target "amdgcn-amd-amdhsa--gfx906"
	.amdhsa_code_object_version 6
	.protected	fft_rtc_fwd_len910_factors_13_2_7_5_wgs_182_tpt_91_dp_op_CI_CI_unitstride_sbrr_C2R_dirReg ; -- Begin function fft_rtc_fwd_len910_factors_13_2_7_5_wgs_182_tpt_91_dp_op_CI_CI_unitstride_sbrr_C2R_dirReg
	.globl	fft_rtc_fwd_len910_factors_13_2_7_5_wgs_182_tpt_91_dp_op_CI_CI_unitstride_sbrr_C2R_dirReg
	.p2align	8
	.type	fft_rtc_fwd_len910_factors_13_2_7_5_wgs_182_tpt_91_dp_op_CI_CI_unitstride_sbrr_C2R_dirReg,@function
fft_rtc_fwd_len910_factors_13_2_7_5_wgs_182_tpt_91_dp_op_CI_CI_unitstride_sbrr_C2R_dirReg: ; @fft_rtc_fwd_len910_factors_13_2_7_5_wgs_182_tpt_91_dp_op_CI_CI_unitstride_sbrr_C2R_dirReg
; %bb.0:
	s_load_dwordx4 s[8:11], s[4:5], 0x58
	s_load_dwordx4 s[12:15], s[4:5], 0x0
	;; [unrolled: 1-line block ×3, first 2 shown]
	v_mul_u32_u24_e32 v1, 0x2d1, v0
	v_lshrrev_b32_e32 v7, 16, v1
	v_mov_b32_e32 v3, 0
	s_waitcnt lgkmcnt(0)
	v_cmp_lt_u64_e64 s[0:1], s[14:15], 2
	v_mov_b32_e32 v1, 0
	v_lshl_add_u32 v5, s6, 1, v7
	v_mov_b32_e32 v6, v3
	s_and_b64 vcc, exec, s[0:1]
	v_mov_b32_e32 v2, 0
	s_cbranch_vccnz .LBB0_8
; %bb.1:
	s_load_dwordx2 s[0:1], s[4:5], 0x10
	s_add_u32 s2, s18, 8
	s_addc_u32 s3, s19, 0
	s_add_u32 s6, s16, 8
	v_mov_b32_e32 v1, 0
	s_addc_u32 s7, s17, 0
	v_mov_b32_e32 v2, 0
	s_waitcnt lgkmcnt(0)
	s_add_u32 s20, s0, 8
	v_mov_b32_e32 v69, v2
	s_addc_u32 s21, s1, 0
	s_mov_b64 s[22:23], 1
	v_mov_b32_e32 v68, v1
.LBB0_2:                                ; =>This Inner Loop Header: Depth=1
	s_load_dwordx2 s[24:25], s[20:21], 0x0
                                        ; implicit-def: $vgpr70_vgpr71
	s_waitcnt lgkmcnt(0)
	v_or_b32_e32 v4, s25, v6
	v_cmp_ne_u64_e32 vcc, 0, v[3:4]
	s_and_saveexec_b64 s[0:1], vcc
	s_xor_b64 s[26:27], exec, s[0:1]
	s_cbranch_execz .LBB0_4
; %bb.3:                                ;   in Loop: Header=BB0_2 Depth=1
	v_cvt_f32_u32_e32 v4, s24
	v_cvt_f32_u32_e32 v8, s25
	s_sub_u32 s0, 0, s24
	s_subb_u32 s1, 0, s25
	v_mac_f32_e32 v4, 0x4f800000, v8
	v_rcp_f32_e32 v4, v4
	v_mul_f32_e32 v4, 0x5f7ffffc, v4
	v_mul_f32_e32 v8, 0x2f800000, v4
	v_trunc_f32_e32 v8, v8
	v_mac_f32_e32 v4, 0xcf800000, v8
	v_cvt_u32_f32_e32 v8, v8
	v_cvt_u32_f32_e32 v4, v4
	v_mul_lo_u32 v9, s0, v8
	v_mul_hi_u32 v10, s0, v4
	v_mul_lo_u32 v12, s1, v4
	v_mul_lo_u32 v11, s0, v4
	v_add_u32_e32 v9, v10, v9
	v_add_u32_e32 v9, v9, v12
	v_mul_hi_u32 v10, v4, v11
	v_mul_lo_u32 v12, v4, v9
	v_mul_hi_u32 v14, v4, v9
	v_mul_hi_u32 v13, v8, v11
	v_mul_lo_u32 v11, v8, v11
	v_mul_hi_u32 v15, v8, v9
	v_add_co_u32_e32 v10, vcc, v10, v12
	v_addc_co_u32_e32 v12, vcc, 0, v14, vcc
	v_mul_lo_u32 v9, v8, v9
	v_add_co_u32_e32 v10, vcc, v10, v11
	v_addc_co_u32_e32 v10, vcc, v12, v13, vcc
	v_addc_co_u32_e32 v11, vcc, 0, v15, vcc
	v_add_co_u32_e32 v9, vcc, v10, v9
	v_addc_co_u32_e32 v10, vcc, 0, v11, vcc
	v_add_co_u32_e32 v4, vcc, v4, v9
	v_addc_co_u32_e32 v8, vcc, v8, v10, vcc
	v_mul_lo_u32 v9, s0, v8
	v_mul_hi_u32 v10, s0, v4
	v_mul_lo_u32 v11, s1, v4
	v_mul_lo_u32 v12, s0, v4
	v_add_u32_e32 v9, v10, v9
	v_add_u32_e32 v9, v9, v11
	v_mul_lo_u32 v13, v4, v9
	v_mul_hi_u32 v14, v4, v12
	v_mul_hi_u32 v15, v4, v9
	;; [unrolled: 1-line block ×3, first 2 shown]
	v_mul_lo_u32 v12, v8, v12
	v_mul_hi_u32 v10, v8, v9
	v_add_co_u32_e32 v13, vcc, v14, v13
	v_addc_co_u32_e32 v14, vcc, 0, v15, vcc
	v_mul_lo_u32 v9, v8, v9
	v_add_co_u32_e32 v12, vcc, v13, v12
	v_addc_co_u32_e32 v11, vcc, v14, v11, vcc
	v_addc_co_u32_e32 v10, vcc, 0, v10, vcc
	v_add_co_u32_e32 v9, vcc, v11, v9
	v_addc_co_u32_e32 v10, vcc, 0, v10, vcc
	v_add_co_u32_e32 v4, vcc, v4, v9
	v_addc_co_u32_e32 v10, vcc, v8, v10, vcc
	v_mad_u64_u32 v[8:9], s[0:1], v5, v10, 0
	v_mul_hi_u32 v11, v5, v4
	v_add_co_u32_e32 v12, vcc, v11, v8
	v_addc_co_u32_e32 v13, vcc, 0, v9, vcc
	v_mad_u64_u32 v[8:9], s[0:1], v6, v4, 0
	v_mad_u64_u32 v[10:11], s[0:1], v6, v10, 0
	v_add_co_u32_e32 v4, vcc, v12, v8
	v_addc_co_u32_e32 v4, vcc, v13, v9, vcc
	v_addc_co_u32_e32 v8, vcc, 0, v11, vcc
	v_add_co_u32_e32 v4, vcc, v4, v10
	v_addc_co_u32_e32 v10, vcc, 0, v8, vcc
	v_mul_lo_u32 v11, s25, v4
	v_mul_lo_u32 v12, s24, v10
	v_mad_u64_u32 v[8:9], s[0:1], s24, v4, 0
	v_add3_u32 v9, v9, v12, v11
	v_sub_u32_e32 v11, v6, v9
	v_mov_b32_e32 v12, s25
	v_sub_co_u32_e32 v8, vcc, v5, v8
	v_subb_co_u32_e64 v11, s[0:1], v11, v12, vcc
	v_subrev_co_u32_e64 v12, s[0:1], s24, v8
	v_subbrev_co_u32_e64 v11, s[0:1], 0, v11, s[0:1]
	v_cmp_le_u32_e64 s[0:1], s25, v11
	v_cndmask_b32_e64 v13, 0, -1, s[0:1]
	v_cmp_le_u32_e64 s[0:1], s24, v12
	v_cndmask_b32_e64 v12, 0, -1, s[0:1]
	v_cmp_eq_u32_e64 s[0:1], s25, v11
	v_cndmask_b32_e64 v11, v13, v12, s[0:1]
	v_add_co_u32_e64 v12, s[0:1], 2, v4
	v_addc_co_u32_e64 v13, s[0:1], 0, v10, s[0:1]
	v_add_co_u32_e64 v14, s[0:1], 1, v4
	v_addc_co_u32_e64 v15, s[0:1], 0, v10, s[0:1]
	v_subb_co_u32_e32 v9, vcc, v6, v9, vcc
	v_cmp_ne_u32_e64 s[0:1], 0, v11
	v_cmp_le_u32_e32 vcc, s25, v9
	v_cndmask_b32_e64 v11, v15, v13, s[0:1]
	v_cndmask_b32_e64 v13, 0, -1, vcc
	v_cmp_le_u32_e32 vcc, s24, v8
	v_cndmask_b32_e64 v8, 0, -1, vcc
	v_cmp_eq_u32_e32 vcc, s25, v9
	v_cndmask_b32_e32 v8, v13, v8, vcc
	v_cmp_ne_u32_e32 vcc, 0, v8
	v_cndmask_b32_e64 v8, v14, v12, s[0:1]
	v_cndmask_b32_e32 v71, v10, v11, vcc
	v_cndmask_b32_e32 v70, v4, v8, vcc
.LBB0_4:                                ;   in Loop: Header=BB0_2 Depth=1
	s_andn2_saveexec_b64 s[0:1], s[26:27]
	s_cbranch_execz .LBB0_6
; %bb.5:                                ;   in Loop: Header=BB0_2 Depth=1
	v_cvt_f32_u32_e32 v4, s24
	s_sub_i32 s26, 0, s24
	v_mov_b32_e32 v71, v3
	v_rcp_iflag_f32_e32 v4, v4
	v_mul_f32_e32 v4, 0x4f7ffffe, v4
	v_cvt_u32_f32_e32 v4, v4
	v_mul_lo_u32 v8, s26, v4
	v_mul_hi_u32 v8, v4, v8
	v_add_u32_e32 v4, v4, v8
	v_mul_hi_u32 v4, v5, v4
	v_mul_lo_u32 v8, v4, s24
	v_add_u32_e32 v9, 1, v4
	v_sub_u32_e32 v8, v5, v8
	v_subrev_u32_e32 v10, s24, v8
	v_cmp_le_u32_e32 vcc, s24, v8
	v_cndmask_b32_e32 v8, v8, v10, vcc
	v_cndmask_b32_e32 v4, v4, v9, vcc
	v_add_u32_e32 v9, 1, v4
	v_cmp_le_u32_e32 vcc, s24, v8
	v_cndmask_b32_e32 v70, v4, v9, vcc
.LBB0_6:                                ;   in Loop: Header=BB0_2 Depth=1
	s_or_b64 exec, exec, s[0:1]
	v_mul_lo_u32 v4, v71, s24
	v_mul_lo_u32 v10, v70, s25
	v_mad_u64_u32 v[8:9], s[0:1], v70, s24, 0
	s_load_dwordx2 s[0:1], s[6:7], 0x0
	s_load_dwordx2 s[24:25], s[2:3], 0x0
	v_add3_u32 v4, v9, v10, v4
	v_sub_co_u32_e32 v5, vcc, v5, v8
	v_subb_co_u32_e32 v4, vcc, v6, v4, vcc
	s_waitcnt lgkmcnt(0)
	v_mul_lo_u32 v6, s0, v4
	v_mul_lo_u32 v8, s1, v5
	v_mad_u64_u32 v[1:2], s[0:1], s0, v5, v[1:2]
	v_mul_lo_u32 v4, s24, v4
	v_mul_lo_u32 v9, s25, v5
	v_mad_u64_u32 v[68:69], s[0:1], s24, v5, v[68:69]
	s_add_u32 s22, s22, 1
	s_addc_u32 s23, s23, 0
	s_add_u32 s2, s2, 8
	v_add3_u32 v69, v9, v69, v4
	s_addc_u32 s3, s3, 0
	v_mov_b32_e32 v4, s14
	s_add_u32 s6, s6, 8
	v_mov_b32_e32 v5, s15
	s_addc_u32 s7, s7, 0
	v_cmp_ge_u64_e32 vcc, s[22:23], v[4:5]
	s_add_u32 s20, s20, 8
	v_add3_u32 v2, v8, v2, v6
	s_addc_u32 s21, s21, 0
	s_cbranch_vccnz .LBB0_9
; %bb.7:                                ;   in Loop: Header=BB0_2 Depth=1
	v_mov_b32_e32 v5, v70
	v_mov_b32_e32 v6, v71
	s_branch .LBB0_2
.LBB0_8:
	v_mov_b32_e32 v69, v2
	v_mov_b32_e32 v71, v6
	;; [unrolled: 1-line block ×4, first 2 shown]
.LBB0_9:
	s_load_dwordx2 s[2:3], s[4:5], 0x28
	s_lshl_b64 s[6:7], s[14:15], 3
	s_add_u32 s14, s18, s6
	v_and_b32_e32 v3, 1, v7
	s_addc_u32 s15, s19, s7
	s_waitcnt lgkmcnt(0)
	v_cmp_gt_u64_e64 s[0:1], s[2:3], v[70:71]
	v_cmp_le_u64_e64 s[2:3], s[2:3], v[70:71]
	v_cmp_eq_u32_e32 vcc, 1, v3
	v_mov_b32_e32 v3, 0x38f
                                        ; implicit-def: $vgpr72
	s_and_saveexec_b64 s[4:5], s[2:3]
	s_xor_b64 s[2:3], exec, s[4:5]
; %bb.10:
	s_mov_b32 s4, 0x2d02d03
	v_mul_hi_u32 v1, v0, s4
	v_mul_u32_u24_e32 v1, 0x5b, v1
	v_sub_u32_e32 v72, v0, v1
                                        ; implicit-def: $vgpr0
                                        ; implicit-def: $vgpr1_vgpr2
; %bb.11:
	s_or_saveexec_b64 s[4:5], s[2:3]
	s_load_dwordx2 s[2:3], s[14:15], 0x0
	v_cndmask_b32_e32 v10, 0, v3, vcc
	v_lshlrev_b32_e32 v211, 4, v10
	s_xor_b64 exec, exec, s[4:5]
	s_cbranch_execz .LBB0_15
; %bb.12:
	s_add_u32 s6, s16, s6
	s_addc_u32 s7, s17, s7
	s_load_dwordx2 s[6:7], s[6:7], 0x0
	s_mov_b32 s14, 0x2d02d03
	v_mul_hi_u32 v5, v0, s14
	v_lshlrev_b64 v[1:2], 4, v[1:2]
	s_waitcnt lgkmcnt(0)
	v_mul_lo_u32 v6, s7, v70
	v_mul_lo_u32 v7, s6, v71
	v_mad_u64_u32 v[3:4], s[6:7], s6, v70, 0
	v_mul_u32_u24_e32 v5, 0x5b, v5
	v_sub_u32_e32 v72, v0, v5
	v_add3_u32 v4, v4, v7, v6
	v_lshlrev_b64 v[3:4], 4, v[3:4]
	v_mov_b32_e32 v0, s9
	v_add_co_u32_e32 v3, vcc, s8, v3
	v_addc_co_u32_e32 v0, vcc, v0, v4, vcc
	v_add_co_u32_e32 v1, vcc, v3, v1
	v_addc_co_u32_e32 v0, vcc, v0, v2, vcc
	v_lshlrev_b32_e32 v2, 4, v72
	v_add_co_u32_e32 v7, vcc, v1, v2
	v_addc_co_u32_e32 v8, vcc, 0, v0, vcc
	s_movk_i32 s6, 0x1000
	v_add_co_u32_e32 v47, vcc, s6, v7
	v_addc_co_u32_e32 v48, vcc, 0, v8, vcc
	s_movk_i32 s6, 0x2000
	v_add_co_u32_e32 v49, vcc, s6, v7
	v_addc_co_u32_e32 v50, vcc, 0, v8, vcc
	global_load_dwordx4 v[3:6], v[7:8], off
	global_load_dwordx4 v[11:14], v[7:8], off offset:1456
	global_load_dwordx4 v[15:18], v[7:8], off offset:2912
	;; [unrolled: 1-line block ×3, first 2 shown]
	v_add_co_u32_e32 v7, vcc, 0x3000, v7
	v_addc_co_u32_e32 v8, vcc, 0, v8, vcc
	global_load_dwordx4 v[23:26], v[47:48], off offset:1728
	global_load_dwordx4 v[27:30], v[47:48], off offset:3184
	;; [unrolled: 1-line block ×6, first 2 shown]
	s_movk_i32 s6, 0x5a
	v_add3_u32 v2, 0, v211, v2
	v_cmp_eq_u32_e32 vcc, s6, v72
	s_waitcnt vmcnt(9)
	ds_write_b128 v2, v[3:6]
	s_waitcnt vmcnt(8)
	ds_write_b128 v2, v[11:14] offset:1456
	s_waitcnt vmcnt(7)
	ds_write_b128 v2, v[15:18] offset:2912
	;; [unrolled: 2-line block ×9, first 2 shown]
	s_and_saveexec_b64 s[6:7], vcc
	s_cbranch_execz .LBB0_14
; %bb.13:
	v_add_co_u32_e32 v3, vcc, 0x3000, v1
	v_addc_co_u32_e32 v4, vcc, 0, v0, vcc
	global_load_dwordx4 v[3:6], v[3:4], off offset:2272
	v_mov_b32_e32 v72, 0x5a
	s_waitcnt vmcnt(0)
	ds_write_b128 v2, v[3:6] offset:13120
.LBB0_14:
	s_or_b64 exec, exec, s[6:7]
.LBB0_15:
	s_or_b64 exec, exec, s[4:5]
	v_lshl_add_u32 v209, v10, 4, 0
	v_lshlrev_b32_e32 v0, 4, v72
	v_add_u32_e32 v210, v209, v0
	s_waitcnt lgkmcnt(0)
	s_barrier
	v_sub_u32_e32 v11, v209, v0
	ds_read_b64 v[6:7], v210
	ds_read_b64 v[8:9], v11 offset:14560
	s_add_u32 s6, s12, 0x3810
	s_addc_u32 s7, s13, 0
	v_cmp_ne_u32_e32 vcc, 0, v72
                                        ; implicit-def: $vgpr4_vgpr5
	s_waitcnt lgkmcnt(0)
	v_add_f64 v[0:1], v[6:7], v[8:9]
	v_add_f64 v[2:3], v[6:7], -v[8:9]
	s_and_saveexec_b64 s[4:5], vcc
	s_xor_b64 s[4:5], exec, s[4:5]
	s_cbranch_execz .LBB0_17
; %bb.16:
	v_mov_b32_e32 v73, 0
	v_lshlrev_b64 v[0:1], 4, v[72:73]
	v_mov_b32_e32 v2, s7
	v_add_co_u32_e32 v0, vcc, s6, v0
	v_addc_co_u32_e32 v1, vcc, v2, v1, vcc
	global_load_dwordx4 v[2:5], v[0:1], off
	ds_read_b64 v[0:1], v11 offset:14568
	ds_read_b64 v[12:13], v210 offset:8
	v_add_f64 v[14:15], v[6:7], v[8:9]
	v_add_f64 v[8:9], v[6:7], -v[8:9]
	s_waitcnt lgkmcnt(0)
	v_add_f64 v[16:17], v[0:1], v[12:13]
	v_add_f64 v[0:1], v[12:13], -v[0:1]
	s_waitcnt vmcnt(0)
	v_fma_f64 v[6:7], -v[8:9], v[4:5], v[14:15]
	v_fma_f64 v[12:13], v[16:17], v[4:5], -v[0:1]
	v_fma_f64 v[14:15], v[8:9], v[4:5], v[14:15]
	v_fma_f64 v[18:19], v[16:17], v[4:5], v[0:1]
	;; [unrolled: 1-line block ×4, first 2 shown]
	v_fma_f64 v[0:1], -v[16:17], v[2:3], v[14:15]
	v_fma_f64 v[2:3], v[8:9], v[2:3], v[18:19]
	ds_write_b128 v11, v[4:7] offset:14560
	v_mov_b32_e32 v4, v72
	v_mov_b32_e32 v5, v73
.LBB0_17:
	s_andn2_saveexec_b64 s[4:5], s[4:5]
	s_cbranch_execz .LBB0_19
; %bb.18:
	ds_read_b128 v[4:7], v209 offset:7280
	s_waitcnt lgkmcnt(0)
	v_add_f64 v[12:13], v[4:5], v[4:5]
	v_mul_f64 v[14:15], v[6:7], -2.0
	v_mov_b32_e32 v4, 0
	v_mov_b32_e32 v5, 0
	ds_write_b128 v209, v[12:15] offset:7280
.LBB0_19:
	s_or_b64 exec, exec, s[4:5]
	v_lshlrev_b64 v[4:5], 4, v[4:5]
	v_mov_b32_e32 v6, s7
	v_add_co_u32_e32 v8, vcc, s6, v4
	v_addc_co_u32_e32 v9, vcc, v6, v5, vcc
	global_load_dwordx4 v[4:7], v[8:9], off offset:1456
	global_load_dwordx4 v[12:15], v[8:9], off offset:2912
	s_movk_i32 s4, 0x1000
	v_add_co_u32_e32 v24, vcc, s4, v8
	ds_write_b128 v210, v[0:3]
	v_addc_co_u32_e32 v25, vcc, 0, v9, vcc
	ds_read_b128 v[0:3], v210 offset:1456
	ds_read_b128 v[16:19], v11 offset:13104
	global_load_dwordx4 v[20:23], v[24:25], off offset:272
	v_lshl_add_u32 v213, v72, 4, 0
	v_lshl_add_u32 v212, v10, 4, v213
	s_mov_b32 s16, 0x4267c47c
	s_waitcnt lgkmcnt(0)
	v_add_f64 v[8:9], v[0:1], v[16:17]
	v_add_f64 v[26:27], v[18:19], v[2:3]
	v_add_f64 v[16:17], v[0:1], -v[16:17]
	v_add_f64 v[0:1], v[2:3], -v[18:19]
	s_mov_b32 s8, 0x42a4c3d2
	s_mov_b32 s18, 0x66966769
	;; [unrolled: 1-line block ×31, first 2 shown]
	s_movk_i32 s28, 0x46
	v_cmp_gt_u32_e32 vcc, s28, v72
	s_waitcnt vmcnt(2)
	v_fma_f64 v[2:3], v[16:17], v[6:7], v[8:9]
	v_fma_f64 v[18:19], v[26:27], v[6:7], v[0:1]
	v_fma_f64 v[8:9], -v[16:17], v[6:7], v[8:9]
	v_fma_f64 v[28:29], v[26:27], v[6:7], -v[0:1]
	v_fma_f64 v[0:1], -v[26:27], v[4:5], v[2:3]
	v_fma_f64 v[2:3], v[16:17], v[4:5], v[18:19]
	v_fma_f64 v[6:7], v[26:27], v[4:5], v[8:9]
	;; [unrolled: 1-line block ×3, first 2 shown]
	ds_write_b128 v210, v[0:3] offset:1456
	ds_write_b128 v11, v[6:9] offset:13104
	ds_read_b128 v[4:7], v210 offset:2912
	ds_read_b128 v[16:19], v11 offset:11648
	global_load_dwordx4 v[0:3], v[24:25], off offset:1728
	s_waitcnt lgkmcnt(0)
	v_add_f64 v[8:9], v[4:5], v[16:17]
	v_add_f64 v[24:25], v[18:19], v[6:7]
	v_add_f64 v[16:17], v[4:5], -v[16:17]
	v_add_f64 v[4:5], v[6:7], -v[18:19]
	s_waitcnt vmcnt(2)
	v_fma_f64 v[6:7], v[16:17], v[14:15], v[8:9]
	v_fma_f64 v[18:19], v[24:25], v[14:15], v[4:5]
	v_fma_f64 v[8:9], -v[16:17], v[14:15], v[8:9]
	v_fma_f64 v[26:27], v[24:25], v[14:15], -v[4:5]
	v_fma_f64 v[4:5], -v[24:25], v[12:13], v[6:7]
	v_fma_f64 v[6:7], v[16:17], v[12:13], v[18:19]
	v_fma_f64 v[14:15], v[24:25], v[12:13], v[8:9]
	;; [unrolled: 1-line block ×3, first 2 shown]
	ds_write_b128 v210, v[4:7] offset:2912
	ds_write_b128 v11, v[14:17] offset:11648
	ds_read_b128 v[4:7], v210 offset:4368
	ds_read_b128 v[12:15], v11 offset:10192
	s_waitcnt lgkmcnt(0)
	v_add_f64 v[8:9], v[4:5], v[12:13]
	v_add_f64 v[16:17], v[14:15], v[6:7]
	v_add_f64 v[18:19], v[4:5], -v[12:13]
	v_add_f64 v[4:5], v[6:7], -v[14:15]
	s_waitcnt vmcnt(1)
	v_fma_f64 v[6:7], v[18:19], v[22:23], v[8:9]
	v_fma_f64 v[12:13], v[16:17], v[22:23], v[4:5]
	v_fma_f64 v[8:9], -v[18:19], v[22:23], v[8:9]
	v_fma_f64 v[14:15], v[16:17], v[22:23], -v[4:5]
	v_fma_f64 v[4:5], -v[16:17], v[20:21], v[6:7]
	v_fma_f64 v[6:7], v[18:19], v[20:21], v[12:13]
	v_fma_f64 v[12:13], v[16:17], v[20:21], v[8:9]
	;; [unrolled: 1-line block ×3, first 2 shown]
	ds_write_b128 v210, v[4:7] offset:4368
	ds_write_b128 v11, v[12:15] offset:10192
	ds_read_b128 v[4:7], v210 offset:5824
	ds_read_b128 v[12:15], v11 offset:8736
	s_waitcnt lgkmcnt(0)
	v_add_f64 v[8:9], v[4:5], v[12:13]
	v_add_f64 v[16:17], v[14:15], v[6:7]
	v_add_f64 v[12:13], v[4:5], -v[12:13]
	v_add_f64 v[4:5], v[6:7], -v[14:15]
	s_waitcnt vmcnt(0)
	v_fma_f64 v[6:7], v[12:13], v[2:3], v[8:9]
	v_fma_f64 v[14:15], v[16:17], v[2:3], v[4:5]
	v_fma_f64 v[8:9], -v[12:13], v[2:3], v[8:9]
	v_fma_f64 v[18:19], v[16:17], v[2:3], -v[4:5]
	v_fma_f64 v[2:3], -v[16:17], v[0:1], v[6:7]
	v_fma_f64 v[4:5], v[12:13], v[0:1], v[14:15]
	v_fma_f64 v[6:7], v[16:17], v[0:1], v[8:9]
	;; [unrolled: 1-line block ×3, first 2 shown]
	ds_write_b128 v210, v[2:5] offset:5824
	ds_write_b128 v11, v[6:9] offset:8736
	s_waitcnt lgkmcnt(0)
	s_barrier
	s_barrier
	ds_read_b128 v[12:15], v212 offset:13440
	ds_read_b128 v[60:63], v212 offset:1120
	ds_read_b128 v[28:31], v210
	ds_read_b128 v[56:59], v212 offset:2240
	ds_read_b128 v[52:55], v212 offset:3360
	;; [unrolled: 1-line block ×10, first 2 shown]
	s_waitcnt lgkmcnt(11)
	v_add_f64 v[205:206], v[62:63], -v[14:15]
	v_add_f64 v[191:192], v[60:61], -v[12:13]
	v_add_f64 v[165:166], v[60:61], v[12:13]
	s_waitcnt lgkmcnt(7)
	v_add_f64 v[203:204], v[58:59], -v[18:19]
	v_add_f64 v[207:208], v[62:63], v[14:15]
	v_add_f64 v[189:190], v[56:57], -v[16:17]
	v_add_f64 v[157:158], v[56:57], v[16:17]
	v_add_f64 v[199:200], v[58:59], v[18:19]
	v_mul_f64 v[95:96], v[205:206], s[16:17]
	v_mul_f64 v[101:102], v[191:192], s[16:17]
	;; [unrolled: 1-line block ×6, first 2 shown]
	s_waitcnt lgkmcnt(6)
	v_add_f64 v[201:202], v[54:55], -v[22:23]
	v_add_f64 v[187:188], v[52:53], -v[20:21]
	v_mul_f64 v[93:94], v[203:204], s[8:9]
	v_mul_f64 v[97:98], v[189:190], s[8:9]
	v_mul_f64 v[107:108], v[203:204], s[22:23]
	v_mul_f64 v[121:122], v[189:190], s[22:23]
	v_mul_f64 v[127:128], v[203:204], s[36:37]
	v_mul_f64 v[153:154], v[189:190], s[36:37]
	v_fma_f64 v[0:1], v[165:166], s[4:5], v[95:96]
	v_fma_f64 v[2:3], v[207:208], s[4:5], -v[101:102]
	v_fma_f64 v[181:182], v[165:166], s[6:7], v[105:106]
	v_fma_f64 v[195:196], v[207:208], s[6:7], -v[139:140]
	;; [unrolled: 2-line block ×3, first 2 shown]
	v_add_f64 v[155:156], v[52:53], v[20:21]
	v_add_f64 v[185:186], v[54:55], v[22:23]
	s_waitcnt lgkmcnt(3)
	v_add_f64 v[193:194], v[50:51], -v[26:27]
	v_add_f64 v[179:180], v[48:49], -v[24:25]
	v_mul_f64 v[87:88], v[201:202], s[18:19]
	v_mul_f64 v[89:90], v[187:188], s[18:19]
	v_mul_f64 v[103:104], v[201:202], s[36:37]
	v_mul_f64 v[115:116], v[187:188], s[36:37]
	v_mul_f64 v[123:124], v[201:202], s[42:43]
	v_mul_f64 v[137:138], v[187:188], s[42:43]
	v_fma_f64 v[4:5], v[157:158], s[6:7], v[93:94]
	v_fma_f64 v[6:7], v[199:200], s[6:7], -v[97:98]
	v_fma_f64 v[183:184], v[157:158], s[20:21], v[107:108]
	v_fma_f64 v[197:198], v[199:200], s[20:21], -v[121:122]
	v_add_f64 v[0:1], v[28:29], v[0:1]
	v_add_f64 v[2:3], v[30:31], v[2:3]
	v_add_f64 v[181:182], v[28:29], v[181:182]
	v_add_f64 v[195:196], v[30:31], v[195:196]
	v_fma_f64 v[230:231], v[157:158], s[30:31], v[127:128]
	v_fma_f64 v[232:233], v[199:200], s[30:31], -v[153:154]
	v_add_f64 v[226:227], v[28:29], v[226:227]
	v_add_f64 v[228:229], v[30:31], v[228:229]
	v_add_f64 v[149:150], v[48:49], v[24:25]
	v_add_f64 v[171:172], v[50:51], v[26:27]
	s_waitcnt lgkmcnt(2)
	v_add_f64 v[159:160], v[46:47], -v[34:35]
	v_add_f64 v[173:174], v[44:45], -v[32:33]
	v_mul_f64 v[81:82], v[193:194], s[22:23]
	v_mul_f64 v[83:84], v[179:180], s[22:23]
	v_mul_f64 v[99:100], v[193:194], s[24:25]
	v_mul_f64 v[113:114], v[179:180], s[24:25]
	v_mul_f64 v[119:120], v[193:194], s[38:39]
	v_mul_f64 v[135:136], v[179:180], s[38:39]
	v_fma_f64 v[8:9], v[155:156], s[14:15], v[87:88]
	v_fma_f64 v[10:11], v[185:186], s[14:15], -v[89:90]
	v_fma_f64 v[214:215], v[155:156], s[30:31], v[103:104]
	v_fma_f64 v[216:217], v[185:186], s[30:31], -v[115:116]
	v_add_f64 v[0:1], v[4:5], v[0:1]
	v_add_f64 v[2:3], v[6:7], v[2:3]
	v_add_f64 v[4:5], v[183:184], v[181:182]
	v_add_f64 v[6:7], v[197:198], v[195:196]
	v_fma_f64 v[181:182], v[155:156], s[20:21], v[123:124]
	v_fma_f64 v[183:184], v[185:186], s[20:21], -v[137:138]
	v_add_f64 v[195:196], v[230:231], v[226:227]
	v_add_f64 v[197:198], v[232:233], v[228:229]
	;; [unrolled: 23-line block ×3, first 2 shown]
	v_add_f64 v[141:142], v[40:41], v[36:37]
	v_add_f64 v[145:146], v[42:43], v[38:39]
	v_mul_f64 v[73:74], v[147:148], s[36:37]
	v_mul_f64 v[75:76], v[161:162], s[36:37]
	;; [unrolled: 1-line block ×6, first 2 shown]
	v_fma_f64 v[167:168], v[143:144], s[26:27], v[77:78]
	v_fma_f64 v[169:170], v[151:152], s[26:27], -v[79:80]
	v_fma_f64 v[222:223], v[143:144], s[14:15], v[91:92]
	v_fma_f64 v[224:225], v[151:152], s[14:15], -v[111:112]
	v_add_f64 v[0:1], v[64:65], v[0:1]
	v_add_f64 v[2:3], v[66:67], v[2:3]
	;; [unrolled: 1-line block ×4, first 2 shown]
	v_fma_f64 v[64:65], v[143:144], s[6:7], v[117:118]
	v_fma_f64 v[66:67], v[151:152], s[6:7], -v[133:134]
	v_add_f64 v[8:9], v[8:9], v[181:182]
	v_add_f64 v[10:11], v[10:11], v[183:184]
	v_fma_f64 v[175:176], v[141:142], s[30:31], v[73:74]
	v_fma_f64 v[177:178], v[145:146], s[30:31], -v[75:76]
	v_add_f64 v[0:1], v[167:168], v[0:1]
	v_add_f64 v[2:3], v[169:170], v[2:3]
	;; [unrolled: 1-line block ×4, first 2 shown]
	v_fma_f64 v[167:168], v[141:142], s[4:5], v[85:86]
	v_fma_f64 v[169:170], v[145:146], s[4:5], -v[109:110]
	v_add_f64 v[64:65], v[64:65], v[8:9]
	v_add_f64 v[66:67], v[66:67], v[10:11]
	v_fma_f64 v[181:182], v[141:142], s[26:27], v[125:126]
	v_fma_f64 v[183:184], v[145:146], s[26:27], -v[131:132]
	v_add_f64 v[8:9], v[175:176], v[0:1]
	v_add_f64 v[10:11], v[177:178], v[2:3]
	;; [unrolled: 1-line block ×4, first 2 shown]
	s_barrier
	v_add_f64 v[0:1], v[181:182], v[64:65]
	v_add_f64 v[2:3], v[183:184], v[66:67]
	s_and_saveexec_b64 s[28:29], vcc
	s_cbranch_execz .LBB0_21
; %bb.20:
	v_mul_f64 v[64:65], v[207:208], s[30:31]
	s_mov_b32 s45, 0x3fcea1e5
	s_mov_b32 s44, s36
	v_mul_f64 v[66:67], v[199:200], s[4:5]
	v_mul_f64 v[214:215], v[185:186], s[26:27]
	v_mul_f64 v[226:227], v[205:206], s[36:37]
	v_mul_f64 v[220:221], v[171:172], s[6:7]
	v_mul_f64 v[230:231], v[151:152], s[20:21]
	v_fma_f64 v[197:198], v[191:192], s[44:45], v[64:65]
	v_mul_f64 v[236:237], v[201:202], s[34:35]
	v_fma_f64 v[64:65], v[191:192], s[36:37], v[64:65]
	v_fma_f64 v[216:217], v[189:190], s[16:17], v[66:67]
	;; [unrolled: 1-line block ×5, first 2 shown]
	v_fma_f64 v[226:227], v[165:166], s[30:31], -v[226:227]
	v_add_f64 v[218:219], v[30:31], v[197:198]
	s_mov_b32 s47, 0x3fea55e2
	s_mov_b32 s46, s8
	v_mul_f64 v[228:229], v[145:146], s[14:15]
	v_mul_f64 v[244:245], v[193:194], s[46:47]
	v_add_f64 v[234:235], v[28:29], v[234:235]
	v_fma_f64 v[246:247], v[173:174], s[42:43], v[230:231]
	v_fma_f64 v[248:249], v[155:156], s[26:27], v[236:237]
	v_add_f64 v[216:217], v[216:217], v[218:219]
	v_mul_f64 v[218:219], v[203:204], s[38:39]
	v_fma_f64 v[66:67], v[189:190], s[38:39], v[66:67]
	v_add_f64 v[64:65], v[30:31], v[64:65]
	v_add_f64 v[226:227], v[28:29], v[226:227]
	v_mul_f64 v[238:239], v[159:160], s[22:23]
	v_fma_f64 v[214:215], v[187:188], s[34:35], v[214:215]
	v_fma_f64 v[236:237], v[155:156], s[26:27], -v[236:237]
	v_add_f64 v[216:217], v[232:233], v[216:217]
	v_fma_f64 v[232:233], v[157:158], s[4:5], v[218:219]
	v_fma_f64 v[218:219], v[157:158], s[4:5], -v[218:219]
	v_add_f64 v[64:65], v[66:67], v[64:65]
	v_mul_f64 v[240:241], v[147:148], s[40:41]
	v_fma_f64 v[230:231], v[173:174], s[22:23], v[230:231]
	v_mul_f64 v[175:176], v[207:208], s[4:5]
	v_mul_f64 v[222:223], v[207:208], s[6:7]
	v_add_f64 v[216:217], v[242:243], v[216:217]
	v_add_f64 v[232:233], v[232:233], v[234:235]
	v_fma_f64 v[234:235], v[161:162], s[18:19], v[228:229]
	v_fma_f64 v[242:243], v[149:150], s[6:7], v[244:245]
	v_add_f64 v[218:219], v[218:219], v[226:227]
	v_mul_f64 v[226:227], v[207:208], s[26:27]
	v_add_f64 v[64:65], v[214:215], v[64:65]
	v_fma_f64 v[228:229], v[161:162], s[40:41], v[228:229]
	v_add_f64 v[216:217], v[246:247], v[216:217]
	v_add_f64 v[232:233], v[248:249], v[232:233]
	v_fma_f64 v[246:247], v[143:144], s[20:21], v[238:239]
	v_mul_f64 v[248:249], v[145:146], s[20:21]
	v_add_f64 v[218:219], v[236:237], v[218:219]
	v_fma_f64 v[236:237], v[191:192], s[24:25], v[226:227]
	v_fma_f64 v[226:227], v[191:192], s[34:35], v[226:227]
	v_mul_f64 v[224:225], v[207:208], s[14:15]
	v_add_f64 v[66:67], v[234:235], v[216:217]
	v_fma_f64 v[216:217], v[179:180], s[46:47], v[220:221]
	v_add_f64 v[214:215], v[242:243], v[232:233]
	v_fma_f64 v[220:221], v[149:150], s[6:7], -v[244:245]
	v_mul_f64 v[234:235], v[199:200], s[14:15]
	v_fma_f64 v[232:233], v[141:142], s[14:15], v[240:241]
	v_add_f64 v[236:237], v[30:31], v[236:237]
	v_mul_f64 v[242:243], v[205:206], s[34:35]
	v_fma_f64 v[240:241], v[141:142], s[14:15], -v[240:241]
	v_add_f64 v[64:65], v[216:217], v[64:65]
	v_add_f64 v[214:215], v[246:247], v[214:215]
	v_fma_f64 v[216:217], v[143:144], s[20:21], -v[238:239]
	v_add_f64 v[218:219], v[220:221], v[218:219]
	v_mul_f64 v[220:221], v[185:186], s[6:7]
	v_fma_f64 v[238:239], v[189:190], s[18:19], v[234:235]
	v_mul_f64 v[244:245], v[171:172], s[30:31]
	v_fma_f64 v[234:235], v[189:190], s[40:41], v[234:235]
	v_add_f64 v[230:231], v[230:231], v[64:65]
	v_add_f64 v[64:65], v[232:233], v[214:215]
	v_mul_f64 v[232:233], v[203:204], s[40:41]
	v_add_f64 v[218:219], v[216:217], v[218:219]
	v_fma_f64 v[246:247], v[187:188], s[46:47], v[220:221]
	v_add_f64 v[236:237], v[238:239], v[236:237]
	v_fma_f64 v[238:239], v[165:166], s[26:27], v[242:243]
	v_add_f64 v[226:227], v[30:31], v[226:227]
	v_add_f64 v[216:217], v[228:229], v[230:231]
	v_fma_f64 v[230:231], v[179:180], s[36:37], v[244:245]
	v_mul_f64 v[228:229], v[151:152], s[4:5]
	v_add_f64 v[214:215], v[240:241], v[218:219]
	v_fma_f64 v[218:219], v[157:158], s[14:15], v[232:233]
	v_add_f64 v[236:237], v[246:247], v[236:237]
	v_add_f64 v[238:239], v[28:29], v[238:239]
	v_mul_f64 v[240:241], v[201:202], s[8:9]
	v_fma_f64 v[220:221], v[187:188], s[8:9], v[220:221]
	v_add_f64 v[226:227], v[234:235], v[226:227]
	v_fma_f64 v[246:247], v[173:174], s[16:17], v[228:229]
	v_fma_f64 v[232:233], v[157:158], s[14:15], -v[232:233]
	v_fma_f64 v[244:245], v[179:180], s[44:45], v[244:245]
	v_add_f64 v[230:231], v[230:231], v[236:237]
	v_fma_f64 v[236:237], v[165:166], s[26:27], -v[242:243]
	v_mul_f64 v[242:243], v[193:194], s[44:45]
	v_add_f64 v[218:219], v[218:219], v[238:239]
	v_fma_f64 v[238:239], v[155:156], s[6:7], v[240:241]
	v_add_f64 v[226:227], v[220:221], v[226:227]
	v_fma_f64 v[240:241], v[155:156], s[6:7], -v[240:241]
	v_mul_f64 v[207:208], v[207:208], s[20:21]
	v_add_f64 v[230:231], v[246:247], v[230:231]
	v_add_f64 v[234:235], v[28:29], v[236:237]
	v_fma_f64 v[236:237], v[149:150], s[30:31], v[242:243]
	v_fma_f64 v[246:247], v[161:162], s[42:43], v[248:249]
	v_add_f64 v[218:219], v[238:239], v[218:219]
	v_mul_f64 v[238:239], v[159:160], s[38:39]
	v_fma_f64 v[228:229], v[173:174], s[38:39], v[228:229]
	v_add_f64 v[226:227], v[244:245], v[226:227]
	v_mul_f64 v[244:245], v[185:186], s[4:5]
	v_add_f64 v[232:233], v[232:233], v[234:235]
	v_mul_f64 v[234:235], v[147:148], s[22:23]
	v_add_f64 v[220:221], v[246:247], v[230:231]
	v_add_f64 v[218:219], v[236:237], v[218:219]
	v_fma_f64 v[236:237], v[143:144], s[4:5], v[238:239]
	v_fma_f64 v[230:231], v[149:150], s[30:31], -v[242:243]
	v_fma_f64 v[242:243], v[191:192], s[42:43], v[207:208]
	v_fma_f64 v[191:192], v[191:192], s[22:23], v[207:208]
	v_add_f64 v[232:233], v[240:241], v[232:233]
	v_fma_f64 v[238:239], v[143:144], s[4:5], -v[238:239]
	v_add_f64 v[226:227], v[228:229], v[226:227]
	v_mul_f64 v[228:229], v[205:206], s[22:23]
	v_add_f64 v[218:219], v[236:237], v[218:219]
	v_mul_f64 v[236:237], v[199:200], s[26:27]
	v_fma_f64 v[240:241], v[141:142], s[20:21], v[234:235]
	v_add_f64 v[191:192], v[30:31], v[191:192]
	v_add_f64 v[230:231], v[230:231], v[232:233]
	v_fma_f64 v[232:233], v[161:162], s[22:23], v[248:249]
	v_add_f64 v[242:243], v[30:31], v[242:243]
	v_fma_f64 v[234:235], v[141:142], s[20:21], -v[234:235]
	v_mul_f64 v[246:247], v[171:172], s[14:15]
	v_fma_f64 v[205:206], v[189:190], s[34:35], v[236:237]
	v_fma_f64 v[189:190], v[189:190], s[24:25], v[236:237]
	;; [unrolled: 1-line block ×3, first 2 shown]
	v_add_f64 v[230:231], v[238:239], v[230:231]
	v_fma_f64 v[187:188], v[187:188], s[38:39], v[244:245]
	v_mul_f64 v[167:168], v[165:166], s[4:5]
	v_mul_f64 v[169:170], v[165:166], s[6:7]
	;; [unrolled: 1-line block ×3, first 2 shown]
	v_add_f64 v[218:219], v[240:241], v[218:219]
	v_add_f64 v[189:190], v[189:190], v[191:192]
	v_mul_f64 v[238:239], v[203:204], s[24:25]
	v_fma_f64 v[240:241], v[165:166], s[20:21], v[228:229]
	v_add_f64 v[242:243], v[205:206], v[242:243]
	v_add_f64 v[205:206], v[232:233], v[226:227]
	;; [unrolled: 1-line block ×3, first 2 shown]
	v_mul_f64 v[226:227], v[151:152], s[30:31]
	v_fma_f64 v[234:235], v[179:180], s[40:41], v[246:247]
	v_fma_f64 v[165:166], v[165:166], s[20:21], -v[228:229]
	v_fma_f64 v[179:180], v[179:180], s[18:19], v[246:247]
	v_add_f64 v[187:188], v[187:188], v[189:190]
	v_mul_f64 v[177:178], v[157:158], s[6:7]
	v_mul_f64 v[183:184], v[157:158], s[20:21]
	v_fma_f64 v[230:231], v[157:158], s[26:27], v[238:239]
	v_add_f64 v[232:233], v[28:29], v[240:241]
	v_mul_f64 v[201:202], v[201:202], s[38:39]
	v_add_f64 v[240:241], v[248:249], v[242:243]
	v_mul_f64 v[242:243], v[157:158], s[30:31]
	v_fma_f64 v[207:208], v[173:174], s[36:37], v[226:227]
	v_fma_f64 v[173:174], v[173:174], s[44:45], v[226:227]
	v_fma_f64 v[157:158], v[157:158], s[26:27], -v[238:239]
	v_add_f64 v[165:166], v[28:29], v[165:166]
	v_mul_f64 v[226:227], v[145:146], s[6:7]
	v_add_f64 v[179:180], v[179:180], v[187:188]
	v_add_f64 v[62:63], v[30:31], v[62:63]
	;; [unrolled: 1-line block ×3, first 2 shown]
	v_mul_f64 v[181:182], v[199:200], s[6:7]
	v_mul_f64 v[197:198], v[199:200], s[20:21]
	;; [unrolled: 1-line block ×3, first 2 shown]
	v_add_f64 v[230:231], v[230:231], v[232:233]
	v_fma_f64 v[232:233], v[155:156], s[4:5], v[201:202]
	v_mul_f64 v[193:194], v[193:194], s[18:19]
	v_add_f64 v[234:235], v[234:235], v[240:241]
	v_add_f64 v[157:158], v[157:158], v[165:166]
	v_fma_f64 v[165:166], v[161:162], s[8:9], v[226:227]
	v_fma_f64 v[161:162], v[161:162], s[46:47], v[226:227]
	v_add_f64 v[173:174], v[173:174], v[179:180]
	v_add_f64 v[163:164], v[163:164], v[224:225]
	;; [unrolled: 1-line block ×4, first 2 shown]
	v_mul_f64 v[248:249], v[185:186], s[14:15]
	v_add_f64 v[230:231], v[232:233], v[230:231]
	v_fma_f64 v[232:233], v[149:150], s[14:15], v[193:194]
	v_add_f64 v[207:208], v[207:208], v[234:235]
	v_mul_f64 v[234:235], v[185:186], s[30:31]
	v_mul_f64 v[185:186], v[185:186], s[20:21]
	;; [unrolled: 1-line block ×3, first 2 shown]
	v_add_f64 v[153:154], v[153:154], v[199:200]
	v_add_f64 v[147:148], v[161:162], v[173:174]
	;; [unrolled: 1-line block ×7, first 2 shown]
	v_mul_f64 v[232:233], v[171:172], s[20:21]
	v_mul_f64 v[246:247], v[171:172], s[26:27]
	;; [unrolled: 1-line block ×3, first 2 shown]
	v_add_f64 v[137:138], v[137:138], v[185:186]
	v_add_f64 v[129:130], v[195:196], -v[129:130]
	v_add_f64 v[153:154], v[153:154], v[161:162]
	v_add_f64 v[121:122], v[121:122], v[197:198]
	;; [unrolled: 1-line block ×5, first 2 shown]
	v_mul_f64 v[244:245], v[155:156], s[20:21]
	v_mul_f64 v[187:188], v[151:152], s[26:27]
	;; [unrolled: 1-line block ×4, first 2 shown]
	v_add_f64 v[60:61], v[135:136], v[171:172]
	v_add_f64 v[62:63], v[242:243], -v[127:128]
	v_add_f64 v[127:128], v[28:29], v[129:130]
	v_add_f64 v[129:130], v[137:138], v[153:154]
	;; [unrolled: 1-line block ×7, first 2 shown]
	v_add_f64 v[58:59], v[244:245], -v[123:124]
	v_add_f64 v[62:63], v[62:63], v[127:128]
	v_add_f64 v[60:61], v[60:61], v[129:130]
	;; [unrolled: 1-line block ×7, first 2 shown]
	v_add_f64 v[44:45], v[167:168], -v[95:96]
	v_add_f64 v[58:59], v[58:59], v[62:63]
	v_add_f64 v[56:57], v[56:57], v[60:61]
	v_add_f64 v[60:61], v[111:112], v[226:227]
	v_add_f64 v[62:63], v[113:114], v[115:116]
	v_add_f64 v[46:47], v[169:170], -v[105:106]
	v_add_f64 v[95:96], v[97:98], v[181:182]
	v_add_f64 v[30:31], v[30:31], v[101:102]
	;; [unrolled: 1-line block ×4, first 2 shown]
	v_mul_f64 v[240:241], v[155:156], s[14:15]
	v_add_f64 v[93:94], v[177:178], -v[93:94]
	v_add_f64 v[40:41], v[28:29], v[44:45]
	v_mul_f64 v[236:237], v[155:156], s[30:31]
	v_add_f64 v[60:61], v[60:61], v[62:63]
	v_add_f64 v[62:63], v[183:184], -v[107:108]
	v_add_f64 v[28:29], v[28:29], v[46:47]
	v_add_f64 v[44:45], v[89:90], v[248:249]
	;; [unrolled: 1-line block ×5, first 2 shown]
	v_mul_f64 v[191:192], v[149:150], s[20:21]
	v_add_f64 v[46:47], v[240:241], -v[87:88]
	v_add_f64 v[36:37], v[93:94], v[40:41]
	v_mul_f64 v[228:229], v[149:150], s[26:27]
	v_mul_f64 v[159:160], v[159:160], s[44:45]
	v_add_f64 v[42:43], v[236:237], -v[103:104]
	v_add_f64 v[28:29], v[62:63], v[28:29]
	v_mul_f64 v[189:190], v[149:150], s[4:5]
	v_fma_f64 v[155:156], v[155:156], s[4:5], -v[201:202]
	v_add_f64 v[40:41], v[83:84], v[232:233]
	v_add_f64 v[30:31], v[44:45], v[30:31]
	v_add_f64 v[26:27], v[34:35], v[26:27]
	v_add_f64 v[24:25], v[32:33], v[24:25]
	v_mul_f64 v[238:239], v[143:144], s[26:27]
	v_add_f64 v[44:45], v[191:192], -v[81:82]
	v_add_f64 v[32:33], v[46:47], v[36:37]
	v_mul_f64 v[201:202], v[143:144], s[14:15]
	v_fma_f64 v[179:180], v[143:144], s[30:31], v[159:160]
	v_add_f64 v[38:39], v[228:229], -v[99:100]
	v_add_f64 v[28:29], v[42:43], v[28:29]
	v_fma_f64 v[149:150], v[149:150], s[14:15], -v[193:194]
	v_mul_f64 v[193:194], v[143:144], s[6:7]
	v_add_f64 v[155:156], v[155:156], v[157:158]
	v_add_f64 v[54:55], v[189:190], -v[119:120]
	v_mul_f64 v[224:225], v[145:146], s[30:31]
	v_add_f64 v[36:37], v[79:80], v[187:188]
	v_add_f64 v[30:31], v[40:41], v[30:31]
	;; [unrolled: 1-line block ×4, first 2 shown]
	v_mul_f64 v[157:158], v[141:142], s[30:31]
	v_add_f64 v[40:41], v[238:239], -v[77:78]
	v_add_f64 v[24:25], v[44:45], v[32:33]
	v_add_f64 v[179:180], v[179:180], v[230:231]
	v_mul_f64 v[230:231], v[141:142], s[4:5]
	v_mul_f64 v[252:253], v[145:146], s[4:5]
	v_add_f64 v[34:35], v[201:202], -v[91:92]
	v_add_f64 v[26:27], v[38:39], v[28:29]
	v_add_f64 v[149:150], v[149:150], v[155:156]
	v_mul_f64 v[155:156], v[141:142], s[26:27]
	v_mul_f64 v[145:146], v[145:146], s[26:27]
	v_add_f64 v[50:51], v[193:194], -v[117:118]
	v_add_f64 v[54:55], v[54:55], v[58:59]
	v_fma_f64 v[159:160], v[143:144], s[30:31], -v[159:160]
	v_add_f64 v[28:29], v[75:76], v[224:225]
	v_add_f64 v[30:31], v[36:37], v[30:31]
	v_add_f64 v[18:19], v[22:23], v[18:19]
	v_add_f64 v[22:23], v[20:21], v[16:17]
	v_add_f64 v[36:37], v[157:158], -v[73:74]
	v_add_f64 v[38:39], v[40:41], v[24:25]
	v_add_f64 v[58:59], v[109:110], v[252:253]
	v_add_f64 v[32:33], v[230:231], -v[85:86]
	v_add_f64 v[34:35], v[34:35], v[26:27]
	v_add_f64 v[52:53], v[131:132], v[145:146]
	;; [unrolled: 3-line block ×3, first 2 shown]
	v_fma_f64 v[165:166], v[141:142], s[6:7], v[250:251]
	v_fma_f64 v[141:142], v[141:142], s[6:7], -v[250:251]
	v_add_f64 v[149:150], v[159:160], v[149:150]
	v_add_f64 v[24:25], v[28:29], v[30:31]
	;; [unrolled: 1-line block ×10, first 2 shown]
	v_mul_u32_u24_e32 v12, 0xc0, v72
	v_add3_u32 v12, v213, v12, v211
	v_add_f64 v[141:142], v[165:166], v[179:180]
	ds_write_b128 v12, v[26:29]
	ds_write_b128 v12, v[22:25] offset:16
	ds_write_b128 v12, v[18:21] offset:32
	ds_write_b128 v12, v[14:17] offset:48
	ds_write_b128 v12, v[145:148] offset:64
	ds_write_b128 v12, v[203:206] offset:80
	ds_write_b128 v12, v[214:217] offset:96
	ds_write_b128 v12, v[64:67] offset:112
	ds_write_b128 v12, v[218:221] offset:128
	ds_write_b128 v12, v[141:144] offset:144
	ds_write_b128 v12, v[0:3] offset:160
	ds_write_b128 v12, v[4:7] offset:176
	ds_write_b128 v12, v[8:11] offset:192
.LBB0_21:
	s_or_b64 exec, exec, s[28:29]
	v_add_u32_e32 v56, 0x5b, v72
	s_movk_i32 s4, 0x4f
	v_add_u32_e32 v20, 0xb6, v72
	v_mul_lo_u16_sdwa v59, v72, s4 dst_sel:DWORD dst_unused:UNUSED_PAD src0_sel:BYTE_0 src1_sel:DWORD
	v_mul_lo_u16_sdwa v57, v56, s4 dst_sel:DWORD dst_unused:UNUSED_PAD src0_sel:BYTE_0 src1_sel:DWORD
	s_movk_i32 s4, 0x4ec5
	v_lshrrev_b16_e32 v81, 10, v59
	v_mul_u32_u24_sdwa v22, v20, s4 dst_sel:DWORD dst_unused:UNUSED_PAD src0_sel:WORD_0 src1_sel:DWORD
	v_mul_lo_u16_e32 v12, 13, v81
	v_lshrrev_b32_e32 v85, 18, v22
	v_sub_u16_e32 v12, v72, v12
	v_mov_b32_e32 v58, 4
	v_lshrrev_b16_e32 v83, 10, v57
	v_mul_lo_u16_e32 v22, 13, v85
	v_add_u32_e32 v21, 0x111, v72
	v_lshlrev_b32_sdwa v82, v58, v12 dst_sel:DWORD dst_unused:UNUSED_PAD src0_sel:DWORD src1_sel:BYTE_0
	v_mul_lo_u16_e32 v12, 13, v83
	v_sub_u16_e32 v20, v20, v22
	v_sub_u16_e32 v12, v56, v12
	v_lshlrev_b32_e32 v86, 4, v20
	v_mul_u32_u24_sdwa v20, v21, s4 dst_sel:DWORD dst_unused:UNUSED_PAD src0_sel:WORD_0 src1_sel:DWORD
	v_add_u32_e32 v28, 0x16c, v72
	s_waitcnt lgkmcnt(0)
	s_barrier
	v_lshlrev_b32_sdwa v84, v58, v12 dst_sel:DWORD dst_unused:UNUSED_PAD src0_sel:DWORD src1_sel:BYTE_0
	global_load_dwordx4 v[12:15], v82, s[12:13]
	global_load_dwordx4 v[16:19], v84, s[12:13]
	v_lshrrev_b32_e32 v87, 18, v20
	v_mul_lo_u16_e32 v20, 13, v87
	v_mul_u32_u24_sdwa v29, v28, s4 dst_sel:DWORD dst_unused:UNUSED_PAD src0_sel:WORD_0 src1_sel:DWORD
	v_sub_u16_e32 v20, v21, v20
	v_lshrrev_b32_e32 v89, 18, v29
	v_lshlrev_b32_e32 v88, 4, v20
	global_load_dwordx4 v[20:23], v86, s[12:13]
	global_load_dwordx4 v[24:27], v88, s[12:13]
	v_mul_lo_u16_e32 v29, 13, v89
	v_sub_u16_e32 v28, v28, v29
	v_lshlrev_b32_e32 v90, 4, v28
	global_load_dwordx4 v[28:31], v90, s[12:13]
	ds_read_b128 v[32:35], v210
	ds_read_b128 v[36:39], v212 offset:1456
	ds_read_b128 v[40:43], v212 offset:8736
	;; [unrolled: 1-line block ×9, first 2 shown]
	s_movk_i32 s4, 0x1a0
	v_mad_u32_u24 v81, v81, s4, 0
	v_mad_u32_u24 v83, v83, s4, 0
	v_add3_u32 v91, v81, v82, v211
	v_add3_u32 v92, v83, v84, v211
	v_mad_u32_u24 v85, v85, s4, 0
	v_add3_u32 v93, v85, v86, v211
	v_mad_u32_u24 v87, v87, s4, 0
	;; [unrolled: 2-line block ×3, first 2 shown]
	v_add3_u32 v95, v89, v90, v211
	s_waitcnt vmcnt(0) lgkmcnt(0)
	s_barrier
	v_cmp_gt_u32_e32 vcc, 39, v72
	v_mul_f64 v[81:82], v[62:63], v[14:15]
	v_mul_f64 v[14:15], v[60:61], v[14:15]
	;; [unrolled: 1-line block ×8, first 2 shown]
	v_fma_f64 v[60:61], v[60:61], v[12:13], -v[81:82]
	v_mul_f64 v[89:90], v[79:80], v[30:31]
	v_mul_f64 v[30:31], v[77:78], v[30:31]
	v_fma_f64 v[12:13], v[62:63], v[12:13], v[14:15]
	v_fma_f64 v[14:15], v[40:41], v[16:17], -v[83:84]
	v_fma_f64 v[16:17], v[42:43], v[16:17], v[18:19]
	v_fma_f64 v[18:19], v[44:45], v[20:21], -v[85:86]
	;; [unrolled: 2-line block ×4, first 2 shown]
	v_fma_f64 v[62:63], v[79:80], v[28:29], v[30:31]
	v_add_f64 v[24:25], v[32:33], -v[60:61]
	v_add_f64 v[26:27], v[34:35], -v[12:13]
	;; [unrolled: 1-line block ×10, first 2 shown]
	v_fma_f64 v[32:33], v[32:33], 2.0, -v[24:25]
	v_fma_f64 v[34:35], v[34:35], 2.0, -v[26:27]
	;; [unrolled: 1-line block ×10, first 2 shown]
	ds_write_b128 v91, v[24:27] offset:208
	ds_write_b128 v91, v[32:35]
	ds_write_b128 v92, v[36:39]
	ds_write_b128 v92, v[28:31] offset:208
	ds_write_b128 v93, v[44:47]
	ds_write_b128 v93, v[40:43] offset:208
	;; [unrolled: 2-line block ×4, first 2 shown]
	s_waitcnt lgkmcnt(0)
	s_barrier
	ds_read_b128 v[28:31], v210
	ds_read_b128 v[48:51], v212 offset:2080
	ds_read_b128 v[44:47], v212 offset:4160
	;; [unrolled: 1-line block ×6, first 2 shown]
                                        ; implicit-def: $vgpr26_vgpr27
	s_and_saveexec_b64 s[4:5], vcc
	s_cbranch_execz .LBB0_23
; %bb.22:
	ds_read_b128 v[12:15], v212 offset:1456
	ds_read_b128 v[16:19], v212 offset:3536
	;; [unrolled: 1-line block ×7, first 2 shown]
.LBB0_23:
	s_or_b64 exec, exec, s[4:5]
	v_lshrrev_b16_e32 v89, 11, v59
	v_mul_lo_u16_e32 v59, 26, v89
	v_sub_u16_e32 v90, v72, v59
	v_mov_b32_e32 v59, 6
	v_mul_u32_u24_sdwa v60, v90, v59 dst_sel:DWORD dst_unused:UNUSED_PAD src0_sel:BYTE_0 src1_sel:DWORD
	v_lshlrev_b32_e32 v91, 4, v60
	global_load_dwordx4 v[60:63], v91, s[12:13] offset:208
	global_load_dwordx4 v[64:67], v91, s[12:13] offset:224
	;; [unrolled: 1-line block ×6, first 2 shown]
	s_movk_i32 s30, 0xb60
	v_mad_u32_u24 v89, v89, s30, 0
	v_lshlrev_b32_sdwa v58, v58, v90 dst_sel:DWORD dst_unused:UNUSED_PAD src0_sel:DWORD src1_sel:BYTE_0
	v_add3_u32 v58, v89, v58, v211
	s_mov_b32 s4, 0x37e14327
	s_mov_b32 s6, 0x36b3c0b5
	;; [unrolled: 1-line block ×20, first 2 shown]
	s_waitcnt vmcnt(0) lgkmcnt(0)
	s_barrier
	v_mul_f64 v[89:90], v[50:51], v[62:63]
	v_mul_f64 v[62:63], v[48:49], v[62:63]
	;; [unrolled: 1-line block ×12, first 2 shown]
	v_fma_f64 v[48:49], v[48:49], v[60:61], -v[89:90]
	v_fma_f64 v[50:51], v[50:51], v[60:61], v[62:63]
	v_fma_f64 v[44:45], v[44:45], v[64:65], -v[91:92]
	v_fma_f64 v[46:47], v[46:47], v[64:65], v[66:67]
	;; [unrolled: 2-line block ×6, first 2 shown]
	v_add_f64 v[60:61], v[48:49], v[52:53]
	v_add_f64 v[62:63], v[50:51], v[54:55]
	v_add_f64 v[48:49], v[48:49], -v[52:53]
	v_add_f64 v[50:51], v[50:51], -v[54:55]
	v_add_f64 v[52:53], v[44:45], v[40:41]
	v_add_f64 v[54:55], v[46:47], v[42:43]
	v_add_f64 v[40:41], v[44:45], -v[40:41]
	v_add_f64 v[42:43], v[46:47], -v[42:43]
	v_add_f64 v[44:45], v[36:37], v[32:33]
	v_add_f64 v[46:47], v[38:39], v[34:35]
	v_add_f64 v[32:33], v[32:33], -v[36:37]
	v_add_f64 v[34:35], v[34:35], -v[38:39]
	v_add_f64 v[36:37], v[52:53], v[60:61]
	v_add_f64 v[38:39], v[54:55], v[62:63]
	v_add_f64 v[64:65], v[52:53], -v[60:61]
	v_add_f64 v[66:67], v[54:55], -v[62:63]
	v_add_f64 v[60:61], v[60:61], -v[44:45]
	v_add_f64 v[62:63], v[62:63], -v[46:47]
	v_add_f64 v[52:53], v[44:45], -v[52:53]
	v_add_f64 v[54:55], v[46:47], -v[54:55]
	v_add_f64 v[73:74], v[32:33], v[40:41]
	v_add_f64 v[75:76], v[34:35], v[42:43]
	v_add_f64 v[77:78], v[32:33], -v[40:41]
	v_add_f64 v[79:80], v[34:35], -v[42:43]
	v_add_f64 v[36:37], v[44:45], v[36:37]
	v_add_f64 v[38:39], v[46:47], v[38:39]
	v_add_f64 v[40:41], v[40:41], -v[48:49]
	v_add_f64 v[42:43], v[42:43], -v[50:51]
	;; [unrolled: 1-line block ×4, first 2 shown]
	v_add_f64 v[44:45], v[73:74], v[48:49]
	v_add_f64 v[46:47], v[75:76], v[50:51]
	v_mul_f64 v[48:49], v[60:61], s[4:5]
	v_mul_f64 v[50:51], v[62:63], s[4:5]
	;; [unrolled: 1-line block ×6, first 2 shown]
	v_add_f64 v[28:29], v[28:29], v[36:37]
	v_add_f64 v[30:31], v[30:31], v[38:39]
	v_mul_f64 v[77:78], v[40:41], s[8:9]
	v_mul_f64 v[79:80], v[42:43], s[8:9]
	v_fma_f64 v[52:53], v[52:53], s[6:7], v[48:49]
	v_fma_f64 v[54:55], v[54:55], s[6:7], v[50:51]
	v_fma_f64 v[60:61], v[64:65], s[18:19], -v[60:61]
	v_fma_f64 v[62:63], v[66:67], s[18:19], -v[62:63]
	;; [unrolled: 1-line block ×4, first 2 shown]
	v_fma_f64 v[64:65], v[32:33], s[22:23], v[73:74]
	v_fma_f64 v[66:67], v[34:35], s[22:23], v[75:76]
	;; [unrolled: 1-line block ×4, first 2 shown]
	v_fma_f64 v[32:33], v[32:33], s[26:27], -v[77:78]
	v_fma_f64 v[34:35], v[34:35], s[26:27], -v[79:80]
	;; [unrolled: 1-line block ×4, first 2 shown]
	v_fma_f64 v[64:65], v[44:45], s[24:25], v[64:65]
	v_fma_f64 v[66:67], v[46:47], s[24:25], v[66:67]
	v_add_f64 v[52:53], v[52:53], v[36:37]
	v_add_f64 v[54:55], v[54:55], v[38:39]
	v_fma_f64 v[77:78], v[44:45], s[24:25], v[32:33]
	v_fma_f64 v[79:80], v[46:47], s[24:25], v[34:35]
	v_add_f64 v[48:49], v[48:49], v[36:37]
	v_add_f64 v[50:51], v[50:51], v[38:39]
	v_fma_f64 v[73:74], v[44:45], s[24:25], v[40:41]
	v_fma_f64 v[75:76], v[46:47], s[24:25], v[42:43]
	v_add_f64 v[44:45], v[60:61], v[36:37]
	v_add_f64 v[46:47], v[62:63], v[38:39]
	v_add_f64 v[32:33], v[66:67], v[52:53]
	v_add_f64 v[34:35], v[54:55], -v[64:65]
	v_add_f64 v[36:37], v[79:80], v[48:49]
	v_add_f64 v[38:39], v[50:51], -v[77:78]
	v_add_f64 v[48:49], v[48:49], -v[79:80]
	v_add_f64 v[50:51], v[77:78], v[50:51]
	v_add_f64 v[40:41], v[44:45], -v[75:76]
	v_add_f64 v[42:43], v[73:74], v[46:47]
	v_add_f64 v[44:45], v[75:76], v[44:45]
	v_add_f64 v[46:47], v[46:47], -v[73:74]
	v_add_f64 v[52:53], v[52:53], -v[66:67]
	v_add_f64 v[54:55], v[64:65], v[54:55]
	ds_write_b128 v58, v[28:31]
	ds_write_b128 v58, v[32:35] offset:416
	ds_write_b128 v58, v[36:39] offset:832
	;; [unrolled: 1-line block ×6, first 2 shown]
	s_and_saveexec_b64 s[28:29], vcc
	s_cbranch_execz .LBB0_25
; %bb.24:
	v_lshrrev_b16_e32 v65, 11, v57
	v_mul_lo_u16_e32 v28, 26, v65
	v_sub_u16_e32 v66, v56, v28
	v_mul_u32_u24_sdwa v28, v66, v59 dst_sel:DWORD dst_unused:UNUSED_PAD src0_sel:BYTE_0 src1_sel:DWORD
	v_lshlrev_b32_e32 v52, 4, v28
	global_load_dwordx4 v[28:31], v52, s[12:13] offset:256
	global_load_dwordx4 v[32:35], v52, s[12:13] offset:240
	;; [unrolled: 1-line block ×6, first 2 shown]
	v_mov_b32_e32 v67, 4
	s_waitcnt vmcnt(5)
	v_mul_f64 v[52:53], v[6:7], v[30:31]
	s_waitcnt vmcnt(4)
	v_mul_f64 v[54:55], v[2:3], v[34:35]
	;; [unrolled: 2-line block ×6, first 2 shown]
	v_mul_f64 v[38:39], v[20:21], v[38:39]
	v_mul_f64 v[42:43], v[8:9], v[42:43]
	;; [unrolled: 1-line block ×6, first 2 shown]
	v_fma_f64 v[4:5], v[4:5], v[28:29], -v[52:53]
	v_fma_f64 v[0:1], v[0:1], v[32:33], -v[54:55]
	;; [unrolled: 1-line block ×6, first 2 shown]
	v_fma_f64 v[22:23], v[22:23], v[36:37], v[38:39]
	v_fma_f64 v[10:11], v[10:11], v[40:41], v[42:43]
	;; [unrolled: 1-line block ×6, first 2 shown]
	v_add_f64 v[28:29], v[4:5], -v[0:1]
	v_add_f64 v[30:31], v[20:21], -v[8:9]
	v_add_f64 v[0:1], v[0:1], v[4:5]
	v_add_f64 v[36:37], v[22:23], v[10:11]
	;; [unrolled: 1-line block ×5, first 2 shown]
	v_add_f64 v[32:33], v[16:17], -v[24:25]
	v_add_f64 v[34:35], v[2:3], v[6:7]
	v_add_f64 v[2:3], v[6:7], -v[2:3]
	v_add_f64 v[6:7], v[22:23], -v[10:11]
	;; [unrolled: 1-line block ×3, first 2 shown]
	v_add_f64 v[16:17], v[28:29], v[30:31]
	v_add_f64 v[26:27], v[36:37], v[38:39]
	;; [unrolled: 1-line block ×3, first 2 shown]
	v_add_f64 v[18:19], v[28:29], -v[30:31]
	v_add_f64 v[20:21], v[32:33], -v[28:29]
	;; [unrolled: 1-line block ×9, first 2 shown]
	v_add_f64 v[26:27], v[34:35], v[26:27]
	v_add_f64 v[38:39], v[0:1], v[42:43]
	;; [unrolled: 1-line block ×3, first 2 shown]
	v_add_f64 v[6:7], v[6:7], -v[10:11]
	v_add_f64 v[48:49], v[10:11], -v[2:3]
	;; [unrolled: 1-line block ×3, first 2 shown]
	v_add_f64 v[8:9], v[16:17], v[32:33]
	v_mul_f64 v[16:17], v[18:19], s[16:17]
	v_mul_f64 v[24:25], v[24:25], s[4:5]
	;; [unrolled: 1-line block ×6, first 2 shown]
	v_add_f64 v[2:3], v[14:15], v[26:27]
	v_add_f64 v[0:1], v[12:13], v[38:39]
	;; [unrolled: 1-line block ×3, first 2 shown]
	v_mul_f64 v[44:45], v[6:7], s[8:9]
	v_mul_f64 v[18:19], v[22:23], s[6:7]
	v_fma_f64 v[46:47], v[20:21], s[22:23], v[16:17]
	v_fma_f64 v[22:23], v[22:23], s[6:7], v[24:25]
	;; [unrolled: 1-line block ×4, first 2 shown]
	v_fma_f64 v[20:21], v[20:21], s[26:27], -v[42:43]
	v_fma_f64 v[28:29], v[4:5], s[20:21], -v[34:35]
	v_fma_f64 v[16:17], v[30:31], s[8:9], -v[16:17]
	v_fma_f64 v[26:27], v[26:27], s[14:15], v[2:3]
	v_fma_f64 v[4:5], v[4:5], s[18:19], -v[32:33]
	v_fma_f64 v[32:33], v[38:39], s[14:15], v[0:1]
	v_fma_f64 v[24:25], v[36:37], s[20:21], -v[24:25]
	v_fma_f64 v[34:35], v[48:49], s[26:27], -v[44:45]
	;; [unrolled: 1-line block ×4, first 2 shown]
	v_fma_f64 v[30:31], v[8:9], s[24:25], v[46:47]
	v_fma_f64 v[36:37], v[10:11], s[24:25], v[12:13]
	;; [unrolled: 1-line block ×4, first 2 shown]
	v_add_f64 v[16:17], v[22:23], v[26:27]
	v_add_f64 v[40:41], v[14:15], v[32:33]
	;; [unrolled: 1-line block ×3, first 2 shown]
	v_fma_f64 v[34:35], v[10:11], s[24:25], v[34:35]
	v_add_f64 v[28:29], v[28:29], v[32:33]
	v_add_f64 v[18:19], v[18:19], v[26:27]
	v_fma_f64 v[38:39], v[10:11], s[24:25], v[6:7]
	v_add_f64 v[4:5], v[4:5], v[32:33]
	v_add_f64 v[26:27], v[16:17], -v[30:31]
	v_add_f64 v[24:25], v[36:37], v[40:41]
	v_add_f64 v[10:11], v[12:13], v[20:21]
	v_add_f64 v[22:23], v[20:21], -v[12:13]
	v_add_f64 v[20:21], v[34:35], v[28:29]
	;; [unrolled: 3-line block ×3, first 2 shown]
	v_add_f64 v[16:17], v[4:5], -v[38:39]
	v_add_f64 v[12:13], v[38:39], v[4:5]
	v_add_f64 v[8:9], v[28:29], -v[34:35]
	v_mad_u32_u24 v50, v65, s30, 0
	v_lshlrev_b32_sdwa v51, v67, v66 dst_sel:DWORD dst_unused:UNUSED_PAD src0_sel:DWORD src1_sel:BYTE_0
	v_add_f64 v[4:5], v[40:41], -v[36:37]
	v_add3_u32 v28, v50, v51, v211
	ds_write_b128 v28, v[0:3]
	ds_write_b128 v28, v[24:27] offset:416
	ds_write_b128 v28, v[20:23] offset:832
	;; [unrolled: 1-line block ×6, first 2 shown]
.LBB0_25:
	s_or_b64 exec, exec, s[28:29]
	v_lshlrev_b32_e32 v0, 2, v72
	v_mov_b32_e32 v1, 0
	v_lshlrev_b64 v[2:3], 4, v[0:1]
	v_mov_b32_e32 v20, s13
	v_add_co_u32_e32 v18, vcc, s12, v2
	v_addc_co_u32_e32 v19, vcc, v20, v3, vcc
	s_waitcnt lgkmcnt(0)
	s_barrier
	global_load_dwordx4 v[2:5], v[18:19], off offset:2720
	global_load_dwordx4 v[6:9], v[18:19], off offset:2704
	;; [unrolled: 1-line block ×4, first 2 shown]
	v_lshlrev_b32_e32 v0, 2, v56
	v_lshlrev_b64 v[18:19], 4, v[0:1]
	s_mov_b32 s8, 0x134454ff
	v_add_co_u32_e32 v34, vcc, s12, v18
	v_addc_co_u32_e32 v35, vcc, v20, v19, vcc
	global_load_dwordx4 v[18:21], v[34:35], off offset:2704
	global_load_dwordx4 v[22:25], v[34:35], off offset:2720
	;; [unrolled: 1-line block ×4, first 2 shown]
	ds_read_b128 v[34:37], v210
	ds_read_b128 v[38:41], v212 offset:1456
	ds_read_b128 v[42:45], v212 offset:2912
	ds_read_b128 v[46:49], v212 offset:4368
	ds_read_b128 v[50:53], v212 offset:5824
	ds_read_b128 v[54:57], v212 offset:7280
	ds_read_b128 v[58:61], v212 offset:8736
	ds_read_b128 v[62:65], v212 offset:10192
	ds_read_b128 v[73:76], v212 offset:11648
	ds_read_b128 v[77:80], v212 offset:13104
	s_mov_b32 s9, 0x3fee6f0e
	s_mov_b32 s15, 0xbfee6f0e
	;; [unrolled: 1-line block ×9, first 2 shown]
	s_waitcnt vmcnt(0) lgkmcnt(0)
	s_barrier
	v_mul_f64 v[81:82], v[52:53], v[4:5]
	v_mul_f64 v[66:67], v[44:45], v[8:9]
	;; [unrolled: 1-line block ×15, first 2 shown]
	v_fma_f64 v[42:43], v[42:43], v[6:7], -v[66:67]
	v_fma_f64 v[6:7], v[44:45], v[6:7], v[8:9]
	v_fma_f64 v[8:9], v[50:51], v[2:3], -v[81:82]
	v_fma_f64 v[2:3], v[52:53], v[2:3], v[4:5]
	;; [unrolled: 2-line block ×3, first 2 shown]
	v_fma_f64 v[16:17], v[73:74], v[10:11], -v[85:86]
	v_mul_f64 v[24:25], v[54:55], v[24:25]
	v_fma_f64 v[10:11], v[75:76], v[10:11], v[12:13]
	v_fma_f64 v[44:45], v[46:47], v[18:19], -v[87:88]
	v_fma_f64 v[46:47], v[48:49], v[18:19], v[20:21]
	v_fma_f64 v[48:49], v[54:55], v[22:23], -v[89:90]
	v_fma_f64 v[50:51], v[62:63], v[26:27], -v[91:92]
	v_fma_f64 v[28:29], v[64:65], v[26:27], v[28:29]
	v_fma_f64 v[52:53], v[77:78], v[30:31], -v[93:94]
	v_fma_f64 v[32:33], v[79:80], v[30:31], v[32:33]
	v_add_f64 v[12:13], v[34:35], v[42:43]
	v_add_f64 v[18:19], v[8:9], v[4:5]
	v_add_f64 v[26:27], v[42:43], -v[8:9]
	v_add_f64 v[30:31], v[16:17], -v[4:5]
	v_add_f64 v[54:55], v[42:43], v[16:17]
	v_fma_f64 v[24:25], v[56:57], v[22:23], v[24:25]
	v_add_f64 v[20:21], v[6:7], -v[10:11]
	v_add_f64 v[22:23], v[2:3], -v[14:15]
	;; [unrolled: 1-line block ×4, first 2 shown]
	v_add_f64 v[60:61], v[36:37], v[6:7]
	v_add_f64 v[62:63], v[2:3], v[14:15]
	v_add_f64 v[64:65], v[8:9], -v[4:5]
	v_add_f64 v[66:67], v[6:7], -v[2:3]
	v_add_f64 v[75:76], v[6:7], v[10:11]
	v_add_f64 v[77:78], v[2:3], -v[6:7]
	v_add_f64 v[6:7], v[38:39], v[44:45]
	v_add_f64 v[8:9], v[12:13], v[8:9]
	v_fma_f64 v[12:13], v[18:19], -0.5, v[34:35]
	v_add_f64 v[18:19], v[26:27], v[30:31]
	v_fma_f64 v[26:27], v[54:55], -0.5, v[34:35]
	v_add_f64 v[42:43], v[42:43], -v[16:17]
	v_add_f64 v[81:82], v[48:49], v[50:51]
	v_add_f64 v[30:31], v[56:57], v[58:59]
	;; [unrolled: 1-line block ×3, first 2 shown]
	v_fma_f64 v[34:35], v[62:63], -0.5, v[36:37]
	v_fma_f64 v[36:37], v[75:76], -0.5, v[36:37]
	v_add_f64 v[56:57], v[6:7], v[48:49]
	v_add_f64 v[4:5], v[8:9], v[4:5]
	v_fma_f64 v[6:7], v[20:21], s[8:9], v[12:13]
	v_fma_f64 v[8:9], v[20:21], s[14:15], v[12:13]
	;; [unrolled: 1-line block ×4, first 2 shown]
	v_add_f64 v[73:74], v[10:11], -v[14:15]
	v_add_f64 v[79:80], v[14:15], -v[10:11]
	;; [unrolled: 1-line block ×3, first 2 shown]
	v_fma_f64 v[58:59], v[81:82], -0.5, v[38:39]
	v_add_f64 v[14:15], v[2:3], v[14:15]
	v_fma_f64 v[60:61], v[42:43], s[14:15], v[34:35]
	v_fma_f64 v[34:35], v[42:43], s[8:9], v[34:35]
	;; [unrolled: 1-line block ×8, first 2 shown]
	v_add_f64 v[85:86], v[24:25], -v[28:29]
	v_add_f64 v[87:88], v[44:45], -v[48:49]
	v_add_f64 v[54:55], v[66:67], v[73:74]
	v_fma_f64 v[22:23], v[83:84], s[8:9], v[58:59]
	v_add_f64 v[2:3], v[4:5], v[16:17]
	v_add_f64 v[4:5], v[14:15], v[10:11]
	v_fma_f64 v[16:17], v[64:65], s[12:13], v[60:61]
	v_fma_f64 v[6:7], v[18:19], s[6:7], v[6:7]
	;; [unrolled: 1-line block ×5, first 2 shown]
	v_add_f64 v[8:9], v[52:53], -v[50:51]
	v_fma_f64 v[12:13], v[64:65], s[4:5], v[34:35]
	v_add_f64 v[20:21], v[44:45], v[52:53]
	v_fma_f64 v[26:27], v[42:43], s[12:13], v[62:63]
	v_add_f64 v[30:31], v[77:78], v[79:80]
	;; [unrolled: 2-line block ×4, first 2 shown]
	v_fma_f64 v[8:9], v[54:55], s[6:7], v[16:17]
	v_fma_f64 v[38:39], v[20:21], -0.5, v[38:39]
	v_fma_f64 v[12:13], v[54:55], s[6:7], v[12:13]
	v_fma_f64 v[16:17], v[30:31], s[6:7], v[26:27]
	;; [unrolled: 1-line block ×3, first 2 shown]
	v_add_f64 v[30:31], v[24:25], v[28:29]
	v_add_f64 v[54:55], v[46:47], v[32:33]
	;; [unrolled: 1-line block ×3, first 2 shown]
	v_fma_f64 v[26:27], v[56:57], s[6:7], v[42:43]
	v_fma_f64 v[34:35], v[83:84], s[14:15], v[58:59]
	v_add_f64 v[42:43], v[48:49], -v[44:45]
	v_add_f64 v[58:59], v[50:51], -v[52:53]
	;; [unrolled: 1-line block ×3, first 2 shown]
	v_fma_f64 v[30:31], v[30:31], -0.5, v[40:41]
	v_add_f64 v[48:49], v[48:49], -v[50:51]
	v_fma_f64 v[40:41], v[54:55], -0.5, v[40:41]
	v_add_f64 v[50:51], v[60:61], v[24:25]
	v_add_f64 v[22:23], v[36:37], v[52:53]
	v_add_f64 v[54:55], v[46:47], -v[24:25]
	v_add_f64 v[42:43], v[42:43], v[58:59]
	v_add_f64 v[58:59], v[32:33], -v[28:29]
	v_fma_f64 v[52:53], v[44:45], s[14:15], v[30:31]
	v_fma_f64 v[36:37], v[85:86], s[14:15], v[38:39]
	;; [unrolled: 1-line block ×3, first 2 shown]
	v_add_f64 v[24:25], v[24:25], -v[46:47]
	v_add_f64 v[46:47], v[28:29], -v[32:33]
	v_fma_f64 v[38:39], v[85:86], s[8:9], v[38:39]
	v_fma_f64 v[30:31], v[44:45], s[8:9], v[30:31]
	;; [unrolled: 1-line block ×3, first 2 shown]
	v_add_f64 v[28:29], v[50:51], v[28:29]
	v_fma_f64 v[50:51], v[48:49], s[12:13], v[52:53]
	v_add_f64 v[52:53], v[54:55], v[58:59]
	v_fma_f64 v[34:35], v[85:86], s[12:13], v[34:35]
	v_fma_f64 v[36:37], v[83:84], s[4:5], v[36:37]
	v_fma_f64 v[54:55], v[44:45], s[12:13], v[60:61]
	v_add_f64 v[46:47], v[24:25], v[46:47]
	v_fma_f64 v[38:39], v[83:84], s[12:13], v[38:39]
	v_fma_f64 v[48:49], v[48:49], s[4:5], v[30:31]
	;; [unrolled: 4-line block ×3, first 2 shown]
	v_fma_f64 v[34:35], v[42:43], s[6:7], v[36:37]
	v_fma_f64 v[36:37], v[46:47], s[6:7], v[54:55]
	;; [unrolled: 1-line block ×5, first 2 shown]
	ds_write_b128 v212, v[2:5]
	ds_write_b128 v212, v[6:9] offset:2912
	ds_write_b128 v212, v[14:17] offset:5824
	ds_write_b128 v212, v[18:21] offset:8736
	ds_write_b128 v212, v[10:13] offset:11648
	ds_write_b128 v212, v[22:25] offset:1456
	ds_write_b128 v212, v[26:29] offset:4368
	ds_write_b128 v212, v[34:37] offset:7280
	ds_write_b128 v212, v[38:41] offset:10192
	ds_write_b128 v212, v[30:33] offset:13104
	s_waitcnt lgkmcnt(0)
	s_barrier
	s_and_saveexec_b64 s[4:5], s[0:1]
	s_cbranch_execz .LBB0_27
; %bb.26:
	v_mul_lo_u32 v0, s3, v70
	v_mul_lo_u32 v2, s2, v71
	v_mad_u64_u32 v[6:7], s[0:1], s2, v70, 0
	v_lshl_add_u32 v12, v72, 4, v209
	v_mov_b32_e32 v73, v1
	v_add3_u32 v7, v7, v2, v0
	v_lshlrev_b64 v[6:7], 4, v[6:7]
	v_mov_b32_e32 v0, s11
	v_add_co_u32_e32 v8, vcc, s10, v6
	v_addc_co_u32_e32 v0, vcc, v0, v7, vcc
	v_lshlrev_b64 v[6:7], 4, v[68:69]
	ds_read_b128 v[2:5], v12
	v_add_co_u32_e32 v13, vcc, v8, v6
	v_addc_co_u32_e32 v14, vcc, v0, v7, vcc
	v_lshlrev_b64 v[6:7], 4, v[72:73]
	v_add_u32_e32 v0, 0x5b, v72
	v_add_co_u32_e32 v10, vcc, v13, v6
	v_addc_co_u32_e32 v11, vcc, v14, v7, vcc
	ds_read_b128 v[6:9], v12 offset:1456
	s_waitcnt lgkmcnt(1)
	global_store_dwordx4 v[10:11], v[2:5], off
	s_nop 0
	v_lshlrev_b64 v[2:3], 4, v[0:1]
	v_add_u32_e32 v0, 0xb6, v72
	v_add_co_u32_e32 v2, vcc, v13, v2
	v_addc_co_u32_e32 v3, vcc, v14, v3, vcc
	s_waitcnt lgkmcnt(0)
	global_store_dwordx4 v[2:3], v[6:9], off
	ds_read_b128 v[2:5], v12 offset:2912
	v_lshlrev_b64 v[6:7], 4, v[0:1]
	v_add_u32_e32 v0, 0x111, v72
	v_add_co_u32_e32 v10, vcc, v13, v6
	v_addc_co_u32_e32 v11, vcc, v14, v7, vcc
	ds_read_b128 v[6:9], v12 offset:4368
	s_waitcnt lgkmcnt(1)
	global_store_dwordx4 v[10:11], v[2:5], off
	s_nop 0
	v_lshlrev_b64 v[2:3], 4, v[0:1]
	v_add_u32_e32 v0, 0x16c, v72
	v_add_co_u32_e32 v2, vcc, v13, v2
	v_addc_co_u32_e32 v3, vcc, v14, v3, vcc
	s_waitcnt lgkmcnt(0)
	global_store_dwordx4 v[2:3], v[6:9], off
	ds_read_b128 v[2:5], v12 offset:5824
	;; [unrolled: 15-line block ×4, first 2 shown]
	v_lshlrev_b64 v[6:7], 4, v[0:1]
	v_add_u32_e32 v0, 0x333, v72
	v_add_co_u32_e32 v10, vcc, v13, v6
	v_addc_co_u32_e32 v11, vcc, v14, v7, vcc
	ds_read_b128 v[6:9], v12 offset:13104
	v_lshlrev_b64 v[0:1], 4, v[0:1]
	s_waitcnt lgkmcnt(1)
	global_store_dwordx4 v[10:11], v[2:5], off
	v_add_co_u32_e32 v0, vcc, v13, v0
	v_addc_co_u32_e32 v1, vcc, v14, v1, vcc
	s_waitcnt lgkmcnt(0)
	global_store_dwordx4 v[0:1], v[6:9], off
.LBB0_27:
	s_endpgm
	.section	.rodata,"a",@progbits
	.p2align	6, 0x0
	.amdhsa_kernel fft_rtc_fwd_len910_factors_13_2_7_5_wgs_182_tpt_91_dp_op_CI_CI_unitstride_sbrr_C2R_dirReg
		.amdhsa_group_segment_fixed_size 0
		.amdhsa_private_segment_fixed_size 0
		.amdhsa_kernarg_size 104
		.amdhsa_user_sgpr_count 6
		.amdhsa_user_sgpr_private_segment_buffer 1
		.amdhsa_user_sgpr_dispatch_ptr 0
		.amdhsa_user_sgpr_queue_ptr 0
		.amdhsa_user_sgpr_kernarg_segment_ptr 1
		.amdhsa_user_sgpr_dispatch_id 0
		.amdhsa_user_sgpr_flat_scratch_init 0
		.amdhsa_user_sgpr_private_segment_size 0
		.amdhsa_uses_dynamic_stack 0
		.amdhsa_system_sgpr_private_segment_wavefront_offset 0
		.amdhsa_system_sgpr_workgroup_id_x 1
		.amdhsa_system_sgpr_workgroup_id_y 0
		.amdhsa_system_sgpr_workgroup_id_z 0
		.amdhsa_system_sgpr_workgroup_info 0
		.amdhsa_system_vgpr_workitem_id 0
		.amdhsa_next_free_vgpr 254
		.amdhsa_next_free_sgpr 48
		.amdhsa_reserve_vcc 1
		.amdhsa_reserve_flat_scratch 0
		.amdhsa_float_round_mode_32 0
		.amdhsa_float_round_mode_16_64 0
		.amdhsa_float_denorm_mode_32 3
		.amdhsa_float_denorm_mode_16_64 3
		.amdhsa_dx10_clamp 1
		.amdhsa_ieee_mode 1
		.amdhsa_fp16_overflow 0
		.amdhsa_exception_fp_ieee_invalid_op 0
		.amdhsa_exception_fp_denorm_src 0
		.amdhsa_exception_fp_ieee_div_zero 0
		.amdhsa_exception_fp_ieee_overflow 0
		.amdhsa_exception_fp_ieee_underflow 0
		.amdhsa_exception_fp_ieee_inexact 0
		.amdhsa_exception_int_div_zero 0
	.end_amdhsa_kernel
	.text
.Lfunc_end0:
	.size	fft_rtc_fwd_len910_factors_13_2_7_5_wgs_182_tpt_91_dp_op_CI_CI_unitstride_sbrr_C2R_dirReg, .Lfunc_end0-fft_rtc_fwd_len910_factors_13_2_7_5_wgs_182_tpt_91_dp_op_CI_CI_unitstride_sbrr_C2R_dirReg
                                        ; -- End function
	.section	.AMDGPU.csdata,"",@progbits
; Kernel info:
; codeLenInByte = 11856
; NumSgprs: 52
; NumVgprs: 254
; ScratchSize: 0
; MemoryBound: 0
; FloatMode: 240
; IeeeMode: 1
; LDSByteSize: 0 bytes/workgroup (compile time only)
; SGPRBlocks: 6
; VGPRBlocks: 63
; NumSGPRsForWavesPerEU: 52
; NumVGPRsForWavesPerEU: 254
; Occupancy: 1
; WaveLimiterHint : 1
; COMPUTE_PGM_RSRC2:SCRATCH_EN: 0
; COMPUTE_PGM_RSRC2:USER_SGPR: 6
; COMPUTE_PGM_RSRC2:TRAP_HANDLER: 0
; COMPUTE_PGM_RSRC2:TGID_X_EN: 1
; COMPUTE_PGM_RSRC2:TGID_Y_EN: 0
; COMPUTE_PGM_RSRC2:TGID_Z_EN: 0
; COMPUTE_PGM_RSRC2:TIDIG_COMP_CNT: 0
	.type	__hip_cuid_af9b69141e4bc37f,@object ; @__hip_cuid_af9b69141e4bc37f
	.section	.bss,"aw",@nobits
	.globl	__hip_cuid_af9b69141e4bc37f
__hip_cuid_af9b69141e4bc37f:
	.byte	0                               ; 0x0
	.size	__hip_cuid_af9b69141e4bc37f, 1

	.ident	"AMD clang version 19.0.0git (https://github.com/RadeonOpenCompute/llvm-project roc-6.4.0 25133 c7fe45cf4b819c5991fe208aaa96edf142730f1d)"
	.section	".note.GNU-stack","",@progbits
	.addrsig
	.addrsig_sym __hip_cuid_af9b69141e4bc37f
	.amdgpu_metadata
---
amdhsa.kernels:
  - .args:
      - .actual_access:  read_only
        .address_space:  global
        .offset:         0
        .size:           8
        .value_kind:     global_buffer
      - .offset:         8
        .size:           8
        .value_kind:     by_value
      - .actual_access:  read_only
        .address_space:  global
        .offset:         16
        .size:           8
        .value_kind:     global_buffer
      - .actual_access:  read_only
        .address_space:  global
        .offset:         24
        .size:           8
        .value_kind:     global_buffer
      - .actual_access:  read_only
        .address_space:  global
        .offset:         32
        .size:           8
        .value_kind:     global_buffer
      - .offset:         40
        .size:           8
        .value_kind:     by_value
      - .actual_access:  read_only
        .address_space:  global
        .offset:         48
        .size:           8
        .value_kind:     global_buffer
      - .actual_access:  read_only
        .address_space:  global
        .offset:         56
        .size:           8
        .value_kind:     global_buffer
      - .offset:         64
        .size:           4
        .value_kind:     by_value
      - .actual_access:  read_only
        .address_space:  global
        .offset:         72
        .size:           8
        .value_kind:     global_buffer
      - .actual_access:  read_only
        .address_space:  global
        .offset:         80
        .size:           8
        .value_kind:     global_buffer
      - .actual_access:  read_only
        .address_space:  global
        .offset:         88
        .size:           8
        .value_kind:     global_buffer
      - .actual_access:  write_only
        .address_space:  global
        .offset:         96
        .size:           8
        .value_kind:     global_buffer
    .group_segment_fixed_size: 0
    .kernarg_segment_align: 8
    .kernarg_segment_size: 104
    .language:       OpenCL C
    .language_version:
      - 2
      - 0
    .max_flat_workgroup_size: 182
    .name:           fft_rtc_fwd_len910_factors_13_2_7_5_wgs_182_tpt_91_dp_op_CI_CI_unitstride_sbrr_C2R_dirReg
    .private_segment_fixed_size: 0
    .sgpr_count:     52
    .sgpr_spill_count: 0
    .symbol:         fft_rtc_fwd_len910_factors_13_2_7_5_wgs_182_tpt_91_dp_op_CI_CI_unitstride_sbrr_C2R_dirReg.kd
    .uniform_work_group_size: 1
    .uses_dynamic_stack: false
    .vgpr_count:     254
    .vgpr_spill_count: 0
    .wavefront_size: 64
amdhsa.target:   amdgcn-amd-amdhsa--gfx906
amdhsa.version:
  - 1
  - 2
...

	.end_amdgpu_metadata
